;; amdgpu-corpus repo=ROCm/rocFFT kind=compiled arch=gfx1030 opt=O3
	.text
	.amdgcn_target "amdgcn-amd-amdhsa--gfx1030"
	.amdhsa_code_object_version 6
	.protected	fft_rtc_back_len1408_factors_2_2_2_2_2_2_11_2_wgs_176_tpt_176_halfLds_half_op_CI_CI_unitstride_sbrr_C2R_dirReg ; -- Begin function fft_rtc_back_len1408_factors_2_2_2_2_2_2_11_2_wgs_176_tpt_176_halfLds_half_op_CI_CI_unitstride_sbrr_C2R_dirReg
	.globl	fft_rtc_back_len1408_factors_2_2_2_2_2_2_11_2_wgs_176_tpt_176_halfLds_half_op_CI_CI_unitstride_sbrr_C2R_dirReg
	.p2align	8
	.type	fft_rtc_back_len1408_factors_2_2_2_2_2_2_11_2_wgs_176_tpt_176_halfLds_half_op_CI_CI_unitstride_sbrr_C2R_dirReg,@function
fft_rtc_back_len1408_factors_2_2_2_2_2_2_11_2_wgs_176_tpt_176_halfLds_half_op_CI_CI_unitstride_sbrr_C2R_dirReg: ; @fft_rtc_back_len1408_factors_2_2_2_2_2_2_11_2_wgs_176_tpt_176_halfLds_half_op_CI_CI_unitstride_sbrr_C2R_dirReg
; %bb.0:
	s_clause 0x2
	s_load_dwordx4 s[12:15], s[4:5], 0x0
	s_load_dwordx4 s[8:11], s[4:5], 0x58
	;; [unrolled: 1-line block ×3, first 2 shown]
	v_mul_u32_u24_e32 v1, 0x175, v0
	v_mov_b32_e32 v3, 0
	v_add_nc_u32_sdwa v5, s6, v1 dst_sel:DWORD dst_unused:UNUSED_PAD src0_sel:DWORD src1_sel:WORD_1
	v_mov_b32_e32 v1, 0
	v_mov_b32_e32 v6, v3
	v_mov_b32_e32 v2, 0
	s_waitcnt lgkmcnt(0)
	v_cmp_lt_u64_e64 s0, s[14:15], 2
	s_and_b32 vcc_lo, exec_lo, s0
	s_cbranch_vccnz .LBB0_8
; %bb.1:
	s_load_dwordx2 s[0:1], s[4:5], 0x10
	v_mov_b32_e32 v1, 0
	v_mov_b32_e32 v2, 0
	s_add_u32 s2, s18, 8
	s_addc_u32 s3, s19, 0
	s_add_u32 s6, s16, 8
	s_addc_u32 s7, s17, 0
	v_mov_b32_e32 v9, v2
	v_mov_b32_e32 v8, v1
	s_mov_b64 s[22:23], 1
	s_waitcnt lgkmcnt(0)
	s_add_u32 s20, s0, 8
	s_addc_u32 s21, s1, 0
.LBB0_2:                                ; =>This Inner Loop Header: Depth=1
	s_load_dwordx2 s[24:25], s[20:21], 0x0
                                        ; implicit-def: $vgpr10_vgpr11
	s_mov_b32 s0, exec_lo
	s_waitcnt lgkmcnt(0)
	v_or_b32_e32 v4, s25, v6
	v_cmpx_ne_u64_e32 0, v[3:4]
	s_xor_b32 s1, exec_lo, s0
	s_cbranch_execz .LBB0_4
; %bb.3:                                ;   in Loop: Header=BB0_2 Depth=1
	v_cvt_f32_u32_e32 v4, s24
	v_cvt_f32_u32_e32 v7, s25
	s_sub_u32 s0, 0, s24
	s_subb_u32 s26, 0, s25
	v_fmac_f32_e32 v4, 0x4f800000, v7
	v_rcp_f32_e32 v4, v4
	v_mul_f32_e32 v4, 0x5f7ffffc, v4
	v_mul_f32_e32 v7, 0x2f800000, v4
	v_trunc_f32_e32 v7, v7
	v_fmac_f32_e32 v4, 0xcf800000, v7
	v_cvt_u32_f32_e32 v7, v7
	v_cvt_u32_f32_e32 v4, v4
	v_mul_lo_u32 v10, s0, v7
	v_mul_hi_u32 v11, s0, v4
	v_mul_lo_u32 v12, s26, v4
	v_add_nc_u32_e32 v10, v11, v10
	v_mul_lo_u32 v11, s0, v4
	v_add_nc_u32_e32 v10, v10, v12
	v_mul_hi_u32 v12, v4, v11
	v_mul_lo_u32 v13, v4, v10
	v_mul_hi_u32 v14, v4, v10
	v_mul_hi_u32 v15, v7, v11
	v_mul_lo_u32 v11, v7, v11
	v_mul_hi_u32 v16, v7, v10
	v_mul_lo_u32 v10, v7, v10
	v_add_co_u32 v12, vcc_lo, v12, v13
	v_add_co_ci_u32_e32 v13, vcc_lo, 0, v14, vcc_lo
	v_add_co_u32 v11, vcc_lo, v12, v11
	v_add_co_ci_u32_e32 v11, vcc_lo, v13, v15, vcc_lo
	v_add_co_ci_u32_e32 v12, vcc_lo, 0, v16, vcc_lo
	v_add_co_u32 v10, vcc_lo, v11, v10
	v_add_co_ci_u32_e32 v11, vcc_lo, 0, v12, vcc_lo
	v_add_co_u32 v4, vcc_lo, v4, v10
	v_add_co_ci_u32_e32 v7, vcc_lo, v7, v11, vcc_lo
	v_mul_hi_u32 v10, s0, v4
	v_mul_lo_u32 v12, s26, v4
	v_mul_lo_u32 v11, s0, v7
	v_add_nc_u32_e32 v10, v10, v11
	v_mul_lo_u32 v11, s0, v4
	v_add_nc_u32_e32 v10, v10, v12
	v_mul_hi_u32 v12, v4, v11
	v_mul_lo_u32 v13, v4, v10
	v_mul_hi_u32 v14, v4, v10
	v_mul_hi_u32 v15, v7, v11
	v_mul_lo_u32 v11, v7, v11
	v_mul_hi_u32 v16, v7, v10
	v_mul_lo_u32 v10, v7, v10
	v_add_co_u32 v12, vcc_lo, v12, v13
	v_add_co_ci_u32_e32 v13, vcc_lo, 0, v14, vcc_lo
	v_add_co_u32 v11, vcc_lo, v12, v11
	v_add_co_ci_u32_e32 v11, vcc_lo, v13, v15, vcc_lo
	v_add_co_ci_u32_e32 v12, vcc_lo, 0, v16, vcc_lo
	v_add_co_u32 v10, vcc_lo, v11, v10
	v_add_co_ci_u32_e32 v11, vcc_lo, 0, v12, vcc_lo
	v_add_co_u32 v4, vcc_lo, v4, v10
	v_add_co_ci_u32_e32 v7, vcc_lo, v7, v11, vcc_lo
	v_mul_hi_u32 v16, v5, v4
	v_mad_u64_u32 v[12:13], null, v6, v4, 0
	v_mad_u64_u32 v[10:11], null, v5, v7, 0
	;; [unrolled: 1-line block ×3, first 2 shown]
	v_add_co_u32 v4, vcc_lo, v16, v10
	v_add_co_ci_u32_e32 v7, vcc_lo, 0, v11, vcc_lo
	v_add_co_u32 v4, vcc_lo, v4, v12
	v_add_co_ci_u32_e32 v4, vcc_lo, v7, v13, vcc_lo
	v_add_co_ci_u32_e32 v7, vcc_lo, 0, v15, vcc_lo
	v_add_co_u32 v4, vcc_lo, v4, v14
	v_add_co_ci_u32_e32 v7, vcc_lo, 0, v7, vcc_lo
	v_mul_lo_u32 v12, s25, v4
	v_mad_u64_u32 v[10:11], null, s24, v4, 0
	v_mul_lo_u32 v13, s24, v7
	v_sub_co_u32 v10, vcc_lo, v5, v10
	v_add3_u32 v11, v11, v13, v12
	v_sub_nc_u32_e32 v12, v6, v11
	v_subrev_co_ci_u32_e64 v12, s0, s25, v12, vcc_lo
	v_add_co_u32 v13, s0, v4, 2
	v_add_co_ci_u32_e64 v14, s0, 0, v7, s0
	v_sub_co_u32 v15, s0, v10, s24
	v_sub_co_ci_u32_e32 v11, vcc_lo, v6, v11, vcc_lo
	v_subrev_co_ci_u32_e64 v12, s0, 0, v12, s0
	v_cmp_le_u32_e32 vcc_lo, s24, v15
	v_cmp_eq_u32_e64 s0, s25, v11
	v_cndmask_b32_e64 v15, 0, -1, vcc_lo
	v_cmp_le_u32_e32 vcc_lo, s25, v12
	v_cndmask_b32_e64 v16, 0, -1, vcc_lo
	v_cmp_le_u32_e32 vcc_lo, s24, v10
	;; [unrolled: 2-line block ×3, first 2 shown]
	v_cndmask_b32_e64 v17, 0, -1, vcc_lo
	v_cmp_eq_u32_e32 vcc_lo, s25, v12
	v_cndmask_b32_e64 v10, v17, v10, s0
	v_cndmask_b32_e32 v12, v16, v15, vcc_lo
	v_add_co_u32 v15, vcc_lo, v4, 1
	v_add_co_ci_u32_e32 v16, vcc_lo, 0, v7, vcc_lo
	v_cmp_ne_u32_e32 vcc_lo, 0, v12
	v_cndmask_b32_e32 v11, v16, v14, vcc_lo
	v_cndmask_b32_e32 v12, v15, v13, vcc_lo
	v_cmp_ne_u32_e32 vcc_lo, 0, v10
	v_cndmask_b32_e32 v11, v7, v11, vcc_lo
	v_cndmask_b32_e32 v10, v4, v12, vcc_lo
.LBB0_4:                                ;   in Loop: Header=BB0_2 Depth=1
	s_andn2_saveexec_b32 s0, s1
	s_cbranch_execz .LBB0_6
; %bb.5:                                ;   in Loop: Header=BB0_2 Depth=1
	v_cvt_f32_u32_e32 v4, s24
	s_sub_i32 s1, 0, s24
	v_rcp_iflag_f32_e32 v4, v4
	v_mul_f32_e32 v4, 0x4f7ffffe, v4
	v_cvt_u32_f32_e32 v4, v4
	v_mul_lo_u32 v7, s1, v4
	v_mul_hi_u32 v7, v4, v7
	v_add_nc_u32_e32 v4, v4, v7
	v_mul_hi_u32 v4, v5, v4
	v_mul_lo_u32 v7, v4, s24
	v_add_nc_u32_e32 v10, 1, v4
	v_sub_nc_u32_e32 v7, v5, v7
	v_subrev_nc_u32_e32 v11, s24, v7
	v_cmp_le_u32_e32 vcc_lo, s24, v7
	v_cndmask_b32_e32 v7, v7, v11, vcc_lo
	v_cndmask_b32_e32 v4, v4, v10, vcc_lo
	v_mov_b32_e32 v11, v3
	v_cmp_le_u32_e32 vcc_lo, s24, v7
	v_add_nc_u32_e32 v10, 1, v4
	v_cndmask_b32_e32 v10, v4, v10, vcc_lo
.LBB0_6:                                ;   in Loop: Header=BB0_2 Depth=1
	s_or_b32 exec_lo, exec_lo, s0
	v_mul_lo_u32 v4, v11, s24
	v_mul_lo_u32 v7, v10, s25
	s_load_dwordx2 s[0:1], s[6:7], 0x0
	v_mad_u64_u32 v[12:13], null, v10, s24, 0
	s_load_dwordx2 s[24:25], s[2:3], 0x0
	s_add_u32 s22, s22, 1
	s_addc_u32 s23, s23, 0
	s_add_u32 s2, s2, 8
	s_addc_u32 s3, s3, 0
	s_add_u32 s6, s6, 8
	v_add3_u32 v4, v13, v7, v4
	v_sub_co_u32 v5, vcc_lo, v5, v12
	s_addc_u32 s7, s7, 0
	s_add_u32 s20, s20, 8
	v_sub_co_ci_u32_e32 v4, vcc_lo, v6, v4, vcc_lo
	s_addc_u32 s21, s21, 0
	s_waitcnt lgkmcnt(0)
	v_mul_lo_u32 v6, s0, v4
	v_mul_lo_u32 v7, s1, v5
	v_mad_u64_u32 v[1:2], null, s0, v5, v[1:2]
	v_mul_lo_u32 v4, s24, v4
	v_mul_lo_u32 v12, s25, v5
	v_mad_u64_u32 v[8:9], null, s24, v5, v[8:9]
	v_cmp_ge_u64_e64 s0, s[22:23], s[14:15]
	v_add3_u32 v2, v7, v2, v6
	v_add3_u32 v9, v12, v9, v4
	s_and_b32 vcc_lo, exec_lo, s0
	s_cbranch_vccnz .LBB0_9
; %bb.7:                                ;   in Loop: Header=BB0_2 Depth=1
	v_mov_b32_e32 v5, v10
	v_mov_b32_e32 v6, v11
	s_branch .LBB0_2
.LBB0_8:
	v_mov_b32_e32 v9, v2
	v_mov_b32_e32 v11, v6
	;; [unrolled: 1-line block ×4, first 2 shown]
.LBB0_9:
	s_load_dwordx2 s[0:1], s[4:5], 0x28
	v_mul_hi_u32 v5, 0x1745d18, v0
	s_lshl_b64 s[4:5], s[14:15], 3
                                        ; implicit-def: $vgpr12
                                        ; implicit-def: $vgpr3_vgpr4
	s_add_u32 s2, s18, s4
	s_addc_u32 s3, s19, s5
	s_waitcnt lgkmcnt(0)
	v_cmp_gt_u64_e32 vcc_lo, s[0:1], v[10:11]
	v_cmp_le_u64_e64 s0, s[0:1], v[10:11]
	s_and_saveexec_b32 s1, s0
	s_xor_b32 s0, exec_lo, s1
; %bb.10:
	v_mul_u32_u24_e32 v1, 0xb0, v5
	v_mov_b32_e32 v13, 0
                                        ; implicit-def: $vgpr5
	v_sub_nc_u32_e32 v12, v0, v1
                                        ; implicit-def: $vgpr0
                                        ; implicit-def: $vgpr1_vgpr2
	v_mov_b32_e32 v3, v12
	v_mov_b32_e32 v4, v13
; %bb.11:
	s_or_saveexec_b32 s1, s0
	s_load_dwordx2 s[2:3], s[2:3], 0x0
	s_xor_b32 exec_lo, exec_lo, s1
	s_cbranch_execz .LBB0_15
; %bb.12:
	s_add_u32 s4, s16, s4
	s_addc_u32 s5, s17, s5
	v_mul_u32_u24_e32 v5, 0xb0, v5
	s_load_dwordx2 s[4:5], s[4:5], 0x0
	v_lshlrev_b64 v[1:2], 2, v[1:2]
	v_sub_nc_u32_e32 v12, v0, v5
	v_lshlrev_b32_e32 v13, 2, v12
	s_waitcnt lgkmcnt(0)
	v_mul_lo_u32 v6, s5, v10
	v_mul_lo_u32 v7, s4, v11
	v_mad_u64_u32 v[3:4], null, s4, v10, 0
	s_mov_b32 s4, exec_lo
	v_add3_u32 v4, v4, v7, v6
	v_lshlrev_b64 v[3:4], 2, v[3:4]
	v_add_co_u32 v0, s0, s8, v3
	v_add_co_ci_u32_e64 v3, s0, s9, v4, s0
	v_add_co_u32 v0, s0, v0, v1
	v_add_co_ci_u32_e64 v1, s0, v3, v2, s0
	;; [unrolled: 2-line block ×5, first 2 shown]
	s_clause 0x7
	global_load_dword v14, v[2:3], off
	global_load_dword v15, v[2:3], off offset:704
	global_load_dword v2, v[2:3], off offset:1408
	;; [unrolled: 1-line block ×7, first 2 shown]
	v_add_nc_u32_e32 v7, 0, v13
	v_mov_b32_e32 v13, 0
	v_mov_b32_e32 v3, v12
	v_add_nc_u32_e32 v19, 0x500, v7
	v_mov_b32_e32 v4, v13
	v_add_nc_u32_e32 v20, 0xa00, v7
	v_add_nc_u32_e32 v21, 0x1000, v7
	s_waitcnt vmcnt(6)
	ds_write2_b32 v7, v14, v15 offset1:176
	s_waitcnt vmcnt(4)
	ds_write2_b32 v19, v2, v16 offset0:32 offset1:208
	s_waitcnt vmcnt(2)
	ds_write2_b32 v20, v17, v5 offset0:64 offset1:240
	;; [unrolled: 2-line block ×3, first 2 shown]
	v_cmpx_eq_u32_e32 0xaf, v12
	s_cbranch_execz .LBB0_14
; %bb.13:
	v_add_co_u32 v0, s0, 0x1000, v0
	v_add_co_ci_u32_e64 v1, s0, 0, v1, s0
	v_mov_b32_e32 v3, 0xaf
	v_mov_b32_e32 v4, 0
	;; [unrolled: 1-line block ×3, first 2 shown]
	global_load_dword v0, v[0:1], off offset:1536
	s_waitcnt vmcnt(0)
	ds_write_b32 v13, v0 offset:5632
.LBB0_14:
	s_or_b32 exec_lo, exec_lo, s4
.LBB0_15:
	s_or_b32 exec_lo, exec_lo, s1
	v_lshlrev_b32_e32 v0, 2, v12
	s_waitcnt lgkmcnt(0)
	s_barrier
	buffer_gl0_inv
	v_lshlrev_b64 v[14:15], 2, v[3:4]
	v_add_nc_u32_e32 v30, 0, v0
	v_sub_nc_u32_e32 v0, 0, v0
	s_add_u32 s1, s12, 0x15f8
	s_addc_u32 s4, s13, 0
	s_mov_b32 s5, exec_lo
	ds_read_u16 v5, v30
	ds_read_u16 v6, v0 offset:5632
	s_waitcnt lgkmcnt(0)
	v_add_f16_e32 v1, v6, v5
	v_sub_f16_e32 v2, v5, v6
	v_cmpx_ne_u32_e32 0, v12
	s_xor_b32 s5, exec_lo, s5
	s_cbranch_execz .LBB0_17
; %bb.16:
	v_add_co_u32 v1, s0, s1, v14
	v_add_co_ci_u32_e64 v2, s0, s4, v15, s0
	v_add_f16_e32 v4, v6, v5
	v_sub_f16_e32 v5, v5, v6
	global_load_dword v3, v[1:2], off
	ds_read_u16 v1, v0 offset:5634
	ds_read_u16 v2, v30 offset:2
	s_waitcnt lgkmcnt(0)
	v_add_f16_e32 v6, v1, v2
	v_sub_f16_e32 v1, v2, v1
	s_waitcnt vmcnt(0)
	v_lshrrev_b32_e32 v7, 16, v3
	v_fma_f16 v13, -v5, v7, v4
	v_fma_f16 v16, v6, v7, -v1
	v_fma_f16 v4, v5, v7, v4
	v_fma_f16 v2, v6, v7, v1
	v_fmac_f16_e32 v13, v3, v6
	v_fmac_f16_e32 v16, v5, v3
	v_fma_f16 v1, -v3, v6, v4
	v_fmac_f16_e32 v2, v5, v3
	v_pack_b32_f16 v4, v13, v16
	ds_write_b32 v0, v4 offset:5632
.LBB0_17:
	s_andn2_saveexec_b32 s0, s5
	s_cbranch_execz .LBB0_19
; %bb.18:
	v_mov_b32_e32 v3, 0
	ds_read_b32 v4, v3 offset:2816
	s_waitcnt lgkmcnt(0)
	v_pk_mul_f16 v4, 0xc0004000, v4
	ds_write_b32 v3, v4 offset:2816
.LBB0_19:
	s_or_b32 exec_lo, exec_lo, s0
	v_mov_b32_e32 v13, 0
	v_perm_b32 v1, v2, v1, 0x5040100
	v_and_b32_e32 v23, 1, v12
	v_add_nc_u32_e32 v20, 0xb0, v12
	v_add_nc_u32_e32 v21, 0x160, v12
	v_lshlrev_b64 v[16:17], 2, v[12:13]
	v_add_nc_u32_e32 v22, 0x210, v12
	v_lshl_add_u32 v24, v12, 2, v30
	v_lshlrev_b32_e32 v28, 2, v23
	v_lshl_add_u32 v25, v20, 3, 0
	v_lshl_add_u32 v26, v21, 3, 0
	v_add_co_u32 v3, s0, s1, v16
	v_add_co_ci_u32_e64 v4, s0, s4, v17, s0
	v_lshl_add_u32 v27, v22, 3, 0
	v_lshlrev_b32_e32 v21, 1, v21
	s_clause 0x1
	global_load_dword v5, v[3:4], off offset:704
	global_load_dword v6, v[3:4], off offset:1408
	v_add_co_u32 v3, s0, 0x800, v3
	v_add_co_ci_u32_e64 v4, s0, 0, v4, s0
	ds_write_b32 v30, v1
	v_and_or_b32 v32, 0x7fc, v21, v23
	v_cmp_gt_u32_e64 s0, 0x80, v12
	global_load_dword v3, v[3:4], off offset:64
	ds_read_b32 v1, v30 offset:704
	ds_read_b32 v2, v0 offset:4928
	v_lshl_add_u32 v32, v32, 2, 0
	s_waitcnt lgkmcnt(0)
	v_add_f16_e32 v4, v1, v2
	v_add_f16_sdwa v7, v2, v1 dst_sel:DWORD dst_unused:UNUSED_PAD src0_sel:WORD_1 src1_sel:WORD_1
	v_sub_f16_e32 v13, v1, v2
	v_sub_f16_sdwa v1, v1, v2 dst_sel:DWORD dst_unused:UNUSED_PAD src0_sel:WORD_1 src1_sel:WORD_1
	s_waitcnt vmcnt(2)
	v_lshrrev_b32_e32 v18, 16, v5
	v_fma_f16 v2, v13, v18, v4
	v_fma_f16 v19, v7, v18, v1
	v_fma_f16 v4, -v13, v18, v4
	v_fma_f16 v1, v7, v18, -v1
	v_fma_f16 v2, -v5, v7, v2
	v_fmac_f16_e32 v19, v13, v5
	v_fmac_f16_e32 v4, v5, v7
	;; [unrolled: 1-line block ×3, first 2 shown]
	v_pack_b32_f16 v2, v2, v19
	v_add_nc_u32_e32 v19, 0x1000, v30
	v_pack_b32_f16 v1, v4, v1
	s_waitcnt vmcnt(1)
	v_lshrrev_b32_e32 v4, 16, v6
	ds_write_b32 v30, v2 offset:704
	ds_write_b32 v0, v1 offset:4928
	ds_read_b32 v1, v30 offset:1408
	ds_read_b32 v2, v0 offset:4224
	s_waitcnt lgkmcnt(0)
	v_add_f16_e32 v5, v1, v2
	v_add_f16_sdwa v7, v2, v1 dst_sel:DWORD dst_unused:UNUSED_PAD src0_sel:WORD_1 src1_sel:WORD_1
	v_sub_f16_e32 v13, v1, v2
	v_sub_f16_sdwa v1, v1, v2 dst_sel:DWORD dst_unused:UNUSED_PAD src0_sel:WORD_1 src1_sel:WORD_1
	v_fma_f16 v2, v13, v4, v5
	v_fma_f16 v18, v7, v4, v1
	v_fma_f16 v5, -v13, v4, v5
	v_fma_f16 v1, v7, v4, -v1
	s_waitcnt vmcnt(0)
	v_lshrrev_b32_e32 v4, 16, v3
	v_fma_f16 v2, -v6, v7, v2
	v_fmac_f16_e32 v18, v13, v6
	v_fmac_f16_e32 v5, v6, v7
	;; [unrolled: 1-line block ×3, first 2 shown]
	v_pack_b32_f16 v2, v2, v18
	v_add_nc_u32_e32 v18, 0x500, v30
	v_pack_b32_f16 v1, v5, v1
	ds_write_b32 v30, v2 offset:1408
	ds_write_b32 v0, v1 offset:4224
	ds_read_b32 v1, v30 offset:2112
	ds_read_b32 v2, v0 offset:3520
	s_waitcnt lgkmcnt(0)
	v_add_f16_e32 v5, v1, v2
	v_add_f16_sdwa v6, v2, v1 dst_sel:DWORD dst_unused:UNUSED_PAD src0_sel:WORD_1 src1_sel:WORD_1
	v_sub_f16_e32 v7, v1, v2
	v_sub_f16_sdwa v1, v1, v2 dst_sel:DWORD dst_unused:UNUSED_PAD src0_sel:WORD_1 src1_sel:WORD_1
	v_fma_f16 v2, v7, v4, v5
	v_fma_f16 v13, v6, v4, v1
	v_fma_f16 v5, -v7, v4, v5
	v_fma_f16 v1, v6, v4, -v1
	v_fma_f16 v2, -v3, v6, v2
	v_fmac_f16_e32 v13, v7, v3
	v_fmac_f16_e32 v5, v3, v6
	v_fmac_f16_e32 v1, v7, v3
	v_pack_b32_f16 v2, v2, v13
	v_add_nc_u32_e32 v13, 0xa00, v30
	v_pack_b32_f16 v1, v5, v1
	ds_write_b32 v30, v2 offset:2112
	ds_write_b32 v0, v1 offset:3520
	s_waitcnt lgkmcnt(0)
	s_barrier
	buffer_gl0_inv
	s_barrier
	buffer_gl0_inv
	ds_read2_b32 v[0:1], v30 offset1:176
	ds_read2_b32 v[2:3], v13 offset0:64 offset1:240
	ds_read2_b32 v[4:5], v18 offset0:32 offset1:208
	;; [unrolled: 1-line block ×3, first 2 shown]
	s_waitcnt lgkmcnt(0)
	s_barrier
	buffer_gl0_inv
	v_pk_add_f16 v2, v0, v2 neg_lo:[0,1] neg_hi:[0,1]
	v_pk_add_f16 v3, v1, v3 neg_lo:[0,1] neg_hi:[0,1]
	;; [unrolled: 1-line block ×4, first 2 shown]
	v_pk_fma_f16 v0, v0, 2.0, v2 op_sel_hi:[1,0,1] neg_lo:[0,0,1] neg_hi:[0,0,1]
	v_pk_fma_f16 v1, v1, 2.0, v3 op_sel_hi:[1,0,1] neg_lo:[0,0,1] neg_hi:[0,0,1]
	;; [unrolled: 1-line block ×4, first 2 shown]
	ds_write2_b32 v24, v0, v2 offset1:1
	ds_write2_b32 v25, v1, v3 offset1:1
	;; [unrolled: 1-line block ×4, first 2 shown]
	s_waitcnt lgkmcnt(0)
	s_barrier
	buffer_gl0_inv
	global_load_dword v24, v28, s[12:13]
	ds_read2_b32 v[0:1], v19 offset0:32 offset1:208
	ds_read2_b32 v[2:3], v13 offset0:64 offset1:240
	v_lshlrev_b32_e32 v25, 1, v12
	v_lshlrev_b32_e32 v26, 1, v20
	;; [unrolled: 1-line block ×3, first 2 shown]
	v_and_b32_e32 v27, 3, v12
	v_and_b32_e32 v22, 31, v22
	v_and_or_b32 v4, 0x1fc, v25, v23
	v_and_or_b32 v5, 0x3fc, v26, v23
	;; [unrolled: 1-line block ×3, first 2 shown]
	v_lshlrev_b32_e32 v29, 2, v27
	v_and_b32_e32 v20, 31, v20
	v_lshl_add_u32 v31, v4, 2, 0
	v_lshl_add_u32 v33, v5, 2, 0
	ds_read2_b32 v[4:5], v30 offset1:176
	ds_read2_b32 v[6:7], v18 offset0:32 offset1:208
	v_lshl_add_u32 v23, v23, 2, 0
	s_waitcnt vmcnt(0) lgkmcnt(0)
	s_barrier
	buffer_gl0_inv
	v_pk_mul_f16 v37, v24, v2 op_sel:[0,1]
	v_pk_mul_f16 v36, v24, v3 op_sel:[0,1]
	v_pk_mul_f16 v35, v24, v0 op_sel:[0,1]
	v_pk_mul_f16 v34, v24, v1 op_sel:[0,1]
	v_pk_fma_f16 v41, v24, v2, v37 op_sel:[0,0,1] op_sel_hi:[1,1,0]
	v_pk_fma_f16 v2, v24, v2, v37 op_sel:[0,0,1] op_sel_hi:[1,0,0] neg_lo:[1,0,0] neg_hi:[1,0,0]
	v_pk_fma_f16 v40, v24, v3, v36 op_sel:[0,0,1] op_sel_hi:[1,1,0]
	v_pk_fma_f16 v3, v24, v3, v36 op_sel:[0,0,1] op_sel_hi:[1,0,0] neg_lo:[1,0,0] neg_hi:[1,0,0]
	;; [unrolled: 2-line block ×4, first 2 shown]
	v_bfi_b32 v2, 0xffff, v41, v2
	v_bfi_b32 v3, 0xffff, v40, v3
	;; [unrolled: 1-line block ×3, first 2 shown]
	v_and_b32_e32 v24, 7, v12
	v_bfi_b32 v1, 0xffff, v38, v1
	v_pk_add_f16 v2, v4, v2 neg_lo:[0,1] neg_hi:[0,1]
	v_pk_add_f16 v3, v5, v3 neg_lo:[0,1] neg_hi:[0,1]
	;; [unrolled: 1-line block ×4, first 2 shown]
	v_pk_fma_f16 v4, v4, 2.0, v2 op_sel_hi:[1,0,1] neg_lo:[0,0,1] neg_hi:[0,0,1]
	v_pk_fma_f16 v5, v5, 2.0, v3 op_sel_hi:[1,0,1] neg_lo:[0,0,1] neg_hi:[0,0,1]
	;; [unrolled: 1-line block ×4, first 2 shown]
	ds_write2_b32 v31, v4, v2 offset1:2
	ds_write2_b32 v33, v5, v3 offset1:2
	;; [unrolled: 1-line block ×4, first 2 shown]
	s_waitcnt lgkmcnt(0)
	s_barrier
	buffer_gl0_inv
	global_load_dword v23, v29, s[12:13] offset:8
	ds_read2_b32 v[0:1], v19 offset0:32 offset1:208
	ds_read2_b32 v[2:3], v13 offset0:64 offset1:240
	v_and_or_b32 v4, 0x1f8, v25, v27
	v_and_or_b32 v5, 0x3f8, v26, v27
	;; [unrolled: 1-line block ×4, first 2 shown]
	v_lshlrev_b32_e32 v29, 2, v24
	v_lshl_add_u32 v31, v4, 2, 0
	v_lshl_add_u32 v33, v5, 2, 0
	ds_read2_b32 v[4:5], v30 offset1:176
	ds_read2_b32 v[6:7], v18 offset0:32 offset1:208
	v_lshl_add_u32 v32, v32, 2, 0
	s_waitcnt vmcnt(0) lgkmcnt(0)
	s_barrier
	buffer_gl0_inv
	v_pk_mul_f16 v37, v23, v2 op_sel:[0,1]
	v_pk_mul_f16 v36, v23, v3 op_sel:[0,1]
	;; [unrolled: 1-line block ×4, first 2 shown]
	v_pk_fma_f16 v41, v23, v2, v37 op_sel:[0,0,1] op_sel_hi:[1,1,0]
	v_pk_fma_f16 v2, v23, v2, v37 op_sel:[0,0,1] op_sel_hi:[1,0,0] neg_lo:[1,0,0] neg_hi:[1,0,0]
	v_pk_fma_f16 v40, v23, v3, v36 op_sel:[0,0,1] op_sel_hi:[1,1,0]
	v_pk_fma_f16 v3, v23, v3, v36 op_sel:[0,0,1] op_sel_hi:[1,0,0] neg_lo:[1,0,0] neg_hi:[1,0,0]
	;; [unrolled: 2-line block ×4, first 2 shown]
	v_bfi_b32 v2, 0xffff, v41, v2
	v_bfi_b32 v3, 0xffff, v40, v3
	;; [unrolled: 1-line block ×3, first 2 shown]
	v_lshl_add_u32 v23, v27, 2, 0
	v_bfi_b32 v1, 0xffff, v38, v1
	v_pk_add_f16 v2, v4, v2 neg_lo:[0,1] neg_hi:[0,1]
	v_pk_add_f16 v3, v5, v3 neg_lo:[0,1] neg_hi:[0,1]
	;; [unrolled: 1-line block ×3, first 2 shown]
	v_and_b32_e32 v27, 15, v12
	v_pk_add_f16 v1, v7, v1 neg_lo:[0,1] neg_hi:[0,1]
	v_pk_fma_f16 v4, v4, 2.0, v2 op_sel_hi:[1,0,1] neg_lo:[0,0,1] neg_hi:[0,0,1]
	v_pk_fma_f16 v5, v5, 2.0, v3 op_sel_hi:[1,0,1] neg_lo:[0,0,1] neg_hi:[0,0,1]
	;; [unrolled: 1-line block ×4, first 2 shown]
	ds_write2_b32 v31, v4, v2 offset1:4
	ds_write2_b32 v33, v5, v3 offset1:4
	;; [unrolled: 1-line block ×4, first 2 shown]
	s_waitcnt lgkmcnt(0)
	s_barrier
	buffer_gl0_inv
	global_load_dword v23, v29, s[12:13] offset:24
	ds_read2_b32 v[0:1], v19 offset0:32 offset1:208
	ds_read2_b32 v[2:3], v13 offset0:64 offset1:240
	v_and_or_b32 v4, 0x1f0, v25, v24
	v_and_or_b32 v5, 0x3f0, v26, v24
	;; [unrolled: 1-line block ×4, first 2 shown]
	v_lshlrev_b32_e32 v29, 2, v27
	v_lshl_add_u32 v31, v4, 2, 0
	v_lshl_add_u32 v33, v5, 2, 0
	ds_read2_b32 v[4:5], v30 offset1:176
	ds_read2_b32 v[6:7], v18 offset0:32 offset1:208
	v_lshl_add_u32 v32, v32, 2, 0
	s_waitcnt vmcnt(0) lgkmcnt(0)
	s_barrier
	buffer_gl0_inv
	v_pk_mul_f16 v37, v23, v2 op_sel:[0,1]
	v_pk_mul_f16 v36, v23, v3 op_sel:[0,1]
	;; [unrolled: 1-line block ×4, first 2 shown]
	v_pk_fma_f16 v41, v23, v2, v37 op_sel:[0,0,1] op_sel_hi:[1,1,0]
	v_pk_fma_f16 v2, v23, v2, v37 op_sel:[0,0,1] op_sel_hi:[1,0,0] neg_lo:[1,0,0] neg_hi:[1,0,0]
	v_pk_fma_f16 v40, v23, v3, v36 op_sel:[0,0,1] op_sel_hi:[1,1,0]
	v_pk_fma_f16 v3, v23, v3, v36 op_sel:[0,0,1] op_sel_hi:[1,0,0] neg_lo:[1,0,0] neg_hi:[1,0,0]
	v_pk_fma_f16 v39, v23, v0, v35 op_sel:[0,0,1] op_sel_hi:[1,1,0]
	v_pk_fma_f16 v0, v23, v0, v35 op_sel:[0,0,1] op_sel_hi:[1,0,0] neg_lo:[1,0,0] neg_hi:[1,0,0]
	v_pk_fma_f16 v38, v23, v1, v34 op_sel:[0,0,1] op_sel_hi:[1,1,0]
	v_pk_fma_f16 v1, v23, v1, v34 op_sel:[0,0,1] op_sel_hi:[1,0,0] neg_lo:[1,0,0] neg_hi:[1,0,0]
	v_bfi_b32 v2, 0xffff, v41, v2
	v_bfi_b32 v3, 0xffff, v40, v3
	;; [unrolled: 1-line block ×3, first 2 shown]
	v_lshl_add_u32 v23, v24, 2, 0
	v_bfi_b32 v1, 0xffff, v38, v1
	v_pk_add_f16 v2, v4, v2 neg_lo:[0,1] neg_hi:[0,1]
	v_pk_add_f16 v3, v5, v3 neg_lo:[0,1] neg_hi:[0,1]
	v_pk_add_f16 v0, v6, v0 neg_lo:[0,1] neg_hi:[0,1]
	v_and_b32_e32 v24, 31, v12
	v_pk_add_f16 v1, v7, v1 neg_lo:[0,1] neg_hi:[0,1]
	v_pk_fma_f16 v4, v4, 2.0, v2 op_sel_hi:[1,0,1] neg_lo:[0,0,1] neg_hi:[0,0,1]
	v_pk_fma_f16 v5, v5, 2.0, v3 op_sel_hi:[1,0,1] neg_lo:[0,0,1] neg_hi:[0,0,1]
	;; [unrolled: 1-line block ×3, first 2 shown]
	v_lshlrev_b32_e32 v34, 2, v22
	v_pk_fma_f16 v7, v7, 2.0, v1 op_sel_hi:[1,0,1] neg_lo:[0,0,1] neg_hi:[0,0,1]
	ds_write2_b32 v31, v4, v2 offset1:8
	ds_write2_b32 v33, v5, v3 offset1:8
	;; [unrolled: 1-line block ×4, first 2 shown]
	s_waitcnt lgkmcnt(0)
	s_barrier
	buffer_gl0_inv
	global_load_dword v23, v29, s[12:13] offset:56
	ds_read2_b32 v[0:1], v19 offset0:32 offset1:208
	ds_read2_b32 v[2:3], v13 offset0:64 offset1:240
	v_and_or_b32 v4, 0x1e0, v25, v27
	v_and_or_b32 v32, 0x7e0, v21, v27
	v_lshlrev_b32_e32 v29, 2, v24
	v_lshlrev_b32_e32 v33, 2, v20
	v_lshl_add_u32 v31, v4, 2, 0
	v_and_or_b32 v4, 0x3e0, v26, v27
	v_and_or_b32 v27, 0x7e0, v28, v27
	v_lshl_add_u32 v32, v32, 2, 0
	v_lshl_add_u32 v35, v4, 2, 0
	ds_read2_b32 v[4:5], v30 offset1:176
	ds_read2_b32 v[6:7], v18 offset0:32 offset1:208
	s_waitcnt vmcnt(0) lgkmcnt(0)
	s_barrier
	buffer_gl0_inv
	v_pk_mul_f16 v39, v23, v2 op_sel:[0,1]
	v_pk_mul_f16 v38, v23, v3 op_sel:[0,1]
	;; [unrolled: 1-line block ×4, first 2 shown]
	v_pk_fma_f16 v43, v23, v2, v39 op_sel:[0,0,1] op_sel_hi:[1,1,0]
	v_pk_fma_f16 v2, v23, v2, v39 op_sel:[0,0,1] op_sel_hi:[1,0,0] neg_lo:[1,0,0] neg_hi:[1,0,0]
	v_pk_fma_f16 v42, v23, v3, v38 op_sel:[0,0,1] op_sel_hi:[1,1,0]
	v_pk_fma_f16 v3, v23, v3, v38 op_sel:[0,0,1] op_sel_hi:[1,0,0] neg_lo:[1,0,0] neg_hi:[1,0,0]
	;; [unrolled: 2-line block ×4, first 2 shown]
	v_bfi_b32 v2, 0xffff, v43, v2
	v_bfi_b32 v3, 0xffff, v42, v3
	v_bfi_b32 v0, 0xffff, v41, v0
	v_lshl_add_u32 v23, v27, 2, 0
	v_bfi_b32 v1, 0xffff, v40, v1
	v_pk_add_f16 v2, v4, v2 neg_lo:[0,1] neg_hi:[0,1]
	v_pk_add_f16 v3, v5, v3 neg_lo:[0,1] neg_hi:[0,1]
	;; [unrolled: 1-line block ×3, first 2 shown]
                                        ; implicit-def: $vgpr41
                                        ; implicit-def: $vgpr38
                                        ; implicit-def: $vgpr40
	v_pk_add_f16 v1, v7, v1 neg_lo:[0,1] neg_hi:[0,1]
	v_pk_fma_f16 v4, v4, 2.0, v2 op_sel_hi:[1,0,1] neg_lo:[0,0,1] neg_hi:[0,0,1]
	v_pk_fma_f16 v5, v5, 2.0, v3 op_sel_hi:[1,0,1] neg_lo:[0,0,1] neg_hi:[0,0,1]
	;; [unrolled: 1-line block ×4, first 2 shown]
	ds_write2_b32 v31, v4, v2 offset1:16
	ds_write2_b32 v35, v5, v3 offset1:16
	;; [unrolled: 1-line block ×4, first 2 shown]
	s_waitcnt lgkmcnt(0)
	s_barrier
	buffer_gl0_inv
	s_clause 0x2
	global_load_dword v23, v34, s[12:13] offset:120
	global_load_dword v27, v29, s[12:13] offset:120
	;; [unrolled: 1-line block ×3, first 2 shown]
	ds_read2_b32 v[0:1], v19 offset0:32 offset1:208
	ds_read2_b32 v[2:3], v13 offset0:64 offset1:240
	v_and_or_b32 v4, 0x1c0, v25, v24
	v_and_or_b32 v5, 0x3c0, v26, v20
	;; [unrolled: 1-line block ×4, first 2 shown]
	v_lshl_add_u32 v13, v4, 2, 0
	v_lshl_add_u32 v26, v5, 2, 0
	;; [unrolled: 1-line block ×4, first 2 shown]
	ds_read2_b32 v[4:5], v18 offset0:32 offset1:208
	ds_read2_b32 v[6:7], v30 offset1:176
	s_waitcnt vmcnt(0) lgkmcnt(0)
	s_barrier
	buffer_gl0_inv
	v_pk_mul_f16 v18, v23, v1 op_sel:[0,1]
	v_pk_mul_f16 v19, v27, v0 op_sel:[0,1]
	;; [unrolled: 1-line block ×4, first 2 shown]
	v_pk_fma_f16 v22, v23, v1, v18 op_sel:[0,0,1] op_sel_hi:[1,1,0]
	v_pk_fma_f16 v1, v23, v1, v18 op_sel:[0,0,1] op_sel_hi:[1,0,0] neg_lo:[1,0,0] neg_hi:[1,0,0]
	v_pk_fma_f16 v18, v27, v0, v19 op_sel:[0,0,1] op_sel_hi:[1,1,0]
	v_pk_fma_f16 v0, v27, v0, v19 op_sel:[0,0,1] op_sel_hi:[1,0,0] neg_lo:[1,0,0] neg_hi:[1,0,0]
	v_pk_fma_f16 v19, v29, v3, v20 op_sel:[0,0,1] op_sel_hi:[1,1,0]
	v_pk_fma_f16 v23, v27, v2, v21 op_sel:[0,0,1] op_sel_hi:[1,1,0]
	v_pk_fma_f16 v2, v27, v2, v21 op_sel:[0,0,1] op_sel_hi:[1,0,0] neg_lo:[1,0,0] neg_hi:[1,0,0]
	v_pk_fma_f16 v3, v29, v3, v20 op_sel:[0,0,1] op_sel_hi:[1,0,0] neg_lo:[1,0,0] neg_hi:[1,0,0]
	v_bfi_b32 v1, 0xffff, v22, v1
	v_bfi_b32 v0, 0xffff, v18, v0
                                        ; implicit-def: $vgpr27
	v_bfi_b32 v2, 0xffff, v23, v2
	v_bfi_b32 v3, 0xffff, v19, v3
	v_pk_add_f16 v21, v5, v1 neg_lo:[0,1] neg_hi:[0,1]
	v_pk_add_f16 v23, v4, v0 neg_lo:[0,1] neg_hi:[0,1]
	;; [unrolled: 1-line block ×4, first 2 shown]
	v_pk_fma_f16 v20, v5, 2.0, v21 op_sel_hi:[1,0,1] neg_lo:[0,0,1] neg_hi:[0,0,1]
	v_pk_fma_f16 v22, v4, 2.0, v23 op_sel_hi:[1,0,1] neg_lo:[0,0,1] neg_hi:[0,0,1]
	v_lshrrev_b32_e32 v33, 16, v21
	v_pk_fma_f16 v18, v6, 2.0, v19 op_sel_hi:[1,0,1] neg_lo:[0,0,1] neg_hi:[0,0,1]
	v_pk_fma_f16 v24, v7, 2.0, v25 op_sel_hi:[1,0,1] neg_lo:[0,0,1] neg_hi:[0,0,1]
	v_lshrrev_b32_e32 v31, 16, v23
	v_lshrrev_b32_e32 v32, 16, v25
	ds_write2_b32 v13, v18, v19 offset1:32
	ds_write2_b32 v26, v24, v25 offset1:32
	ds_write2_b32 v28, v22, v23 offset1:32
	v_lshrrev_b32_e32 v35, 16, v20
	v_lshrrev_b32_e32 v34, 16, v22
	;; [unrolled: 1-line block ×5, first 2 shown]
	ds_write2_b32 v37, v20, v21 offset1:32
	s_waitcnt lgkmcnt(0)
	s_barrier
	buffer_gl0_inv
                                        ; implicit-def: $vgpr37
	s_and_saveexec_b32 s1, s0
	s_cbranch_execz .LBB0_21
; %bb.20:
	ds_read2st64_b32 v[18:19], v30 offset1:2
	ds_read2st64_b32 v[26:27], v30 offset0:16 offset1:18
	ds_read_b32 v38, v30 offset:5120
	ds_read2st64_b32 v[24:25], v30 offset0:4 offset1:6
	ds_read2st64_b32 v[22:23], v30 offset0:8 offset1:10
	ds_read2st64_b32 v[20:21], v30 offset0:12 offset1:14
	s_waitcnt lgkmcnt(5)
	v_lshrrev_b32_e32 v13, 16, v18
	s_waitcnt lgkmcnt(4)
	v_lshrrev_b32_e32 v37, 16, v26
	v_lshrrev_b32_e32 v40, 16, v27
	s_waitcnt lgkmcnt(3)
	v_lshrrev_b32_e32 v41, 16, v38
	;; [unrolled: 3-line block ×5, first 2 shown]
	v_lshrrev_b32_e32 v33, 16, v21
.LBB0_21:
	s_or_b32 exec_lo, exec_lo, s1
	s_barrier
	buffer_gl0_inv
	s_and_saveexec_b32 s1, s0
	s_cbranch_execz .LBB0_23
; %bb.22:
	v_and_b32_e32 v42, 63, v12
	v_lshrrev_b32_e32 v43, 6, v12
	v_mul_u32_u24_e32 v0, 10, v42
	v_mul_u32_u24_e32 v43, 0x2c0, v43
	v_lshlrev_b32_e32 v0, 2, v0
	v_or_b32_e32 v42, v43, v42
	s_clause 0x2
	global_load_dwordx4 v[4:7], v0, s[12:13] offset:248
	global_load_dwordx2 v[28:29], v0, s[12:13] offset:280
	global_load_dwordx4 v[0:3], v0, s[12:13] offset:264
	v_lshl_add_u32 v42, v42, 2, 0
	s_waitcnt vmcnt(2)
	v_mul_f16_sdwa v43, v39, v4 dst_sel:DWORD dst_unused:UNUSED_PAD src0_sel:DWORD src1_sel:WORD_1
	s_waitcnt vmcnt(1)
	v_mul_f16_sdwa v45, v38, v29 dst_sel:DWORD dst_unused:UNUSED_PAD src0_sel:DWORD src1_sel:WORD_1
	v_mul_f16_sdwa v46, v19, v4 dst_sel:DWORD dst_unused:UNUSED_PAD src0_sel:DWORD src1_sel:WORD_1
	;; [unrolled: 1-line block ×7, first 2 shown]
	s_waitcnt vmcnt(0)
	v_mul_f16_sdwa v56, v33, v2 dst_sel:DWORD dst_unused:UNUSED_PAD src0_sel:DWORD src1_sel:WORD_1
	v_fmac_f16_e32 v43, v19, v4
	v_fma_f16 v19, v41, v29, -v45
	v_fma_f16 v4, v39, v4, -v46
	v_mul_f16_sdwa v51, v32, v6 dst_sel:DWORD dst_unused:UNUSED_PAD src0_sel:DWORD src1_sel:WORD_1
	v_mul_f16_sdwa v54, v25, v6 dst_sel:DWORD dst_unused:UNUSED_PAD src0_sel:DWORD src1_sel:WORD_1
	;; [unrolled: 1-line block ×6, first 2 shown]
	v_fmac_f16_e32 v44, v38, v29
	v_fmac_f16_e32 v47, v24, v5
	;; [unrolled: 1-line block ×3, first 2 shown]
	v_fma_f16 v24, v40, v28, -v49
	v_fma_f16 v5, v36, v5, -v50
	v_fmac_f16_e32 v56, v21, v2
	v_add_f16_e32 v21, v4, v19
	v_sub_f16_e32 v28, v4, v19
	v_add_f16_e32 v29, v18, v43
	v_add_f16_e32 v4, v13, v4
	v_mul_f16_sdwa v52, v37, v3 dst_sel:DWORD dst_unused:UNUSED_PAD src0_sel:DWORD src1_sel:WORD_1
	v_mul_f16_sdwa v53, v26, v3 dst_sel:DWORD dst_unused:UNUSED_PAD src0_sel:DWORD src1_sel:WORD_1
	;; [unrolled: 1-line block ×5, first 2 shown]
	v_fmac_f16_e32 v51, v25, v6
	v_fma_f16 v6, v32, v6, -v54
	v_fmac_f16_e32 v59, v23, v0
	v_fmac_f16_e32 v60, v20, v1
	v_fma_f16 v1, v35, v1, -v61
	v_add_f16_e32 v23, v5, v24
	v_sub_f16_e32 v35, v5, v24
	v_add_f16_e32 v4, v4, v5
	v_add_f16_e32 v5, v29, v47
	v_fmac_f16_e32 v52, v26, v3
	v_fma_f16 v3, v37, v3, -v53
	v_fmac_f16_e32 v55, v22, v7
	v_fma_f16 v2, v33, v2, -v57
	v_fma_f16 v7, v34, v7, -v58
	;; [unrolled: 1-line block ×3, first 2 shown]
	v_sub_f16_e32 v20, v43, v44
	v_add_f16_e32 v4, v4, v6
	v_add_f16_e32 v5, v5, v51
	v_sub_f16_e32 v22, v47, v48
	v_sub_f16_e32 v25, v51, v52
	v_add_f16_e32 v26, v6, v3
	v_add_f16_e32 v27, v43, v44
	v_sub_f16_e32 v31, v55, v56
	v_add_f16_e32 v32, v7, v2
	v_sub_f16_e32 v33, v59, v60
	;; [unrolled: 2-line block ×3, first 2 shown]
	v_sub_f16_e32 v39, v7, v2
	v_sub_f16_e32 v41, v0, v1
	v_mul_f16_e32 v45, 0xba0c, v20
	v_mul_f16_e32 v50, 0xba0c, v28
	;; [unrolled: 1-line block ×10, first 2 shown]
	v_add_f16_e32 v5, v5, v55
	v_add_f16_e32 v4, v4, v7
	;; [unrolled: 1-line block ×6, first 2 shown]
	v_mul_f16_e32 v46, 0x3beb, v22
	v_mul_f16_e32 v49, 0xb853, v25
	;; [unrolled: 1-line block ×40, first 2 shown]
	v_fmamk_f16 v96, v21, 0xb93d, v45
	v_fma_f16 v99, v27, 0xb93d, -v50
	v_fmamk_f16 v100, v21, 0xbbad, v53
	v_fma_f16 v102, v27, 0xbbad, -v58
	v_fma_f16 v53, v21, 0xbbad, -v53
	v_fmac_f16_e32 v58, 0xbbad, v27
	v_fma_f16 v21, v21, 0xb93d, -v45
	v_fmac_f16_e32 v50, 0xb93d, v27
	v_fmamk_f16 v45, v20, 0x3beb, v61
	v_fmamk_f16 v103, v27, 0xb08e, v63
	;; [unrolled: 1-line block ×4, first 2 shown]
	v_fma_f16 v63, v27, 0xb08e, -v63
	v_fma_f16 v66, v27, 0x36a6, -v66
	;; [unrolled: 1-line block ×3, first 2 shown]
	v_fmamk_f16 v28, v20, 0x3b47, v64
	v_fmamk_f16 v107, v20, 0x3853, v67
	v_fmac_f16_e32 v61, 0xbbeb, v20
	v_fmac_f16_e32 v64, 0xbb47, v20
	v_add_f16_e32 v5, v5, v59
	v_add_f16_e32 v0, v4, v0
	v_fmamk_f16 v97, v23, 0xb08e, v46
	v_fmamk_f16 v98, v26, 0x3abb, v49
	;; [unrolled: 1-line block ×3, first 2 shown]
	v_fma_f16 v54, v23, 0x3abb, -v54
	v_fma_f16 v23, v23, 0xb08e, -v46
	v_fmamk_f16 v46, v22, 0xb482, v62
	v_fmamk_f16 v106, v22, 0x3a0c, v65
	v_fmac_f16_e32 v67, 0xb853, v20
	v_fmamk_f16 v20, v22, 0x3b47, v68
	v_fmac_f16_e32 v62, 0x3482, v22
	v_fmac_f16_e32 v65, 0xba0c, v22
	;; [unrolled: 1-line block ×3, first 2 shown]
	v_fmamk_f16 v22, v26, 0xb93d, v57
	v_fma_f16 v57, v26, 0xb93d, -v57
	v_fma_f16 v26, v26, 0x3abb, -v49
	v_fmamk_f16 v49, v25, 0xbb47, v69
	v_fmac_f16_e32 v69, 0x3b47, v25
	v_fmamk_f16 v108, v25, 0xb482, v70
	v_fmac_f16_e32 v70, 0x3482, v25
	;; [unrolled: 2-line block ×3, first 2 shown]
	v_fmamk_f16 v25, v32, 0x36a6, v72
	v_fma_f16 v72, v32, 0x36a6, -v72
	v_fmamk_f16 v110, v32, 0xbbad, v73
	v_fma_f16 v32, v32, 0xbbad, -v73
	v_fmamk_f16 v73, v31, 0x3853, v74
	v_fmac_f16_e32 v74, 0xb853, v31
	v_fmamk_f16 v111, v31, 0xbbeb, v75
	v_fmac_f16_e32 v75, 0x3beb, v31
	;; [unrolled: 2-line block ×3, first 2 shown]
	v_fmamk_f16 v31, v34, 0xb08e, v77
	v_fma_f16 v77, v34, 0xb08e, -v77
	v_fmamk_f16 v113, v34, 0x36a6, v78
	v_fma_f16 v34, v34, 0x36a6, -v78
	v_fmamk_f16 v78, v33, 0x3a0c, v79
	v_fmac_f16_e32 v79, 0xba0c, v33
	v_fmamk_f16 v114, v33, 0xb853, v80
	v_fmac_f16_e32 v80, 0x3853, v33
	;; [unrolled: 2-line block ×3, first 2 shown]
	v_fma_f16 v33, v36, 0x3abb, -v29
	v_fmac_f16_e32 v29, 0x3abb, v36
	v_fma_f16 v116, v36, 0xb08e, -v47
	v_fmac_f16_e32 v47, 0xb08e, v36
	v_fmamk_f16 v117, v36, 0xbbad, v82
	v_fma_f16 v82, v36, 0xbbad, -v82
	v_fmamk_f16 v118, v36, 0xb93d, v83
	v_fma_f16 v83, v36, 0xb93d, -v83
	v_fmamk_f16 v119, v36, 0x36a6, v35
	v_fma_f16 v35, v36, 0x36a6, -v35
	v_fma_f16 v6, v38, 0xb93d, -v84
	v_fmac_f16_e32 v84, 0xb93d, v38
	v_fma_f16 v36, v38, 0x3abb, -v85
	v_fmac_f16_e32 v85, 0x3abb, v38
	v_fmamk_f16 v51, v38, 0x36a6, v86
	v_fma_f16 v86, v38, 0x36a6, -v86
	v_fmamk_f16 v120, v38, 0xbbad, v87
	v_fma_f16 v87, v38, 0xbbad, -v87
	v_fmamk_f16 v121, v38, 0xb08e, v37
	v_fma_f16 v37, v38, 0xb08e, -v37
	;; [unrolled: 10-line block ×4, first 2 shown]
	v_add_f16_e32 v43, v18, v99
	v_add_f16_e32 v99, v18, v102
	;; [unrolled: 1-line block ×110, first 2 shown]
	v_pack_b32_f16 v24, v31, v28
	v_pack_b32_f16 v26, v29, v26
	;; [unrolled: 1-line block ×11, first 2 shown]
	ds_write2st64_b32 v42, v24, v26 offset0:2 offset1:3
	ds_write2st64_b32 v42, v21, v23 offset0:4 offset1:5
	;; [unrolled: 1-line block ×4, first 2 shown]
	ds_write2st64_b32 v42, v0, v20 offset1:1
	ds_write_b32 v42, v3 offset:2560
.LBB0_23:
	s_or_b32 exec_lo, exec_lo, s1
	v_add_co_u32 v0, s0, s12, v14
	v_add_co_ci_u32_e64 v1, s0, s13, v15, s0
	v_add_co_u32 v4, s0, s12, v16
	v_add_co_ci_u32_e64 v5, s0, s13, v17, s0
	;; [unrolled: 2-line block ×5, first 2 shown]
	s_waitcnt lgkmcnt(0)
	s_barrier
	buffer_gl0_inv
	s_clause 0x3
	global_load_dword v13, v[0:1], off offset:760
	global_load_dword v14, v[2:3], off offset:1464
	;; [unrolled: 1-line block ×4, first 2 shown]
	v_add_nc_u32_e32 v17, 0xa00, v30
	v_add_nc_u32_e32 v18, 0x1000, v30
	ds_read2_b32 v[0:1], v17 offset0:64 offset1:240
	ds_read2_b32 v[2:3], v18 offset0:32 offset1:208
	v_add_nc_u32_e32 v19, 0x500, v30
	ds_read2_b32 v[4:5], v30 offset1:176
	ds_read2_b32 v[6:7], v19 offset0:32 offset1:208
	s_waitcnt vmcnt(0) lgkmcnt(0)
	s_barrier
	buffer_gl0_inv
	v_pk_mul_f16 v20, v13, v0 op_sel:[0,1]
	v_pk_mul_f16 v21, v14, v1 op_sel:[0,1]
	;; [unrolled: 1-line block ×4, first 2 shown]
	v_pk_fma_f16 v24, v13, v0, v20 op_sel:[0,0,1] op_sel_hi:[1,1,0]
	v_pk_fma_f16 v0, v13, v0, v20 op_sel:[0,0,1] op_sel_hi:[1,0,0] neg_lo:[1,0,0] neg_hi:[1,0,0]
	v_pk_fma_f16 v13, v14, v1, v21 op_sel:[0,0,1] op_sel_hi:[1,1,0]
	v_pk_fma_f16 v1, v14, v1, v21 op_sel:[0,0,1] op_sel_hi:[1,0,0] neg_lo:[1,0,0] neg_hi:[1,0,0]
	;; [unrolled: 2-line block ×4, first 2 shown]
	v_bfi_b32 v0, 0xffff, v24, v0
	v_bfi_b32 v1, 0xffff, v13, v1
	;; [unrolled: 1-line block ×4, first 2 shown]
	v_pk_add_f16 v0, v4, v0 neg_lo:[0,1] neg_hi:[0,1]
	v_pk_add_f16 v1, v5, v1 neg_lo:[0,1] neg_hi:[0,1]
	v_pk_add_f16 v2, v6, v2 neg_lo:[0,1] neg_hi:[0,1]
	v_pk_add_f16 v3, v7, v3 neg_lo:[0,1] neg_hi:[0,1]
	v_pk_fma_f16 v4, v4, 2.0, v0 op_sel_hi:[1,0,1] neg_lo:[0,0,1] neg_hi:[0,0,1]
	v_pk_fma_f16 v5, v5, 2.0, v1 op_sel_hi:[1,0,1] neg_lo:[0,0,1] neg_hi:[0,0,1]
	;; [unrolled: 1-line block ×4, first 2 shown]
	ds_write2_b32 v17, v0, v1 offset0:64 offset1:240
	ds_write2_b32 v18, v2, v3 offset0:32 offset1:208
	ds_write2_b32 v30, v4, v5 offset1:176
	ds_write2_b32 v19, v6, v7 offset0:32 offset1:208
	s_waitcnt lgkmcnt(0)
	s_barrier
	buffer_gl0_inv
	s_and_saveexec_b32 s0, vcc_lo
	s_cbranch_execz .LBB0_25
; %bb.24:
	v_mul_lo_u32 v2, s3, v10
	v_mul_lo_u32 v3, s2, v11
	v_mad_u64_u32 v[0:1], null, s2, v10, 0
	v_lshl_add_u32 v14, v12, 2, 0
	v_mov_b32_e32 v13, 0
	v_add_nc_u32_e32 v4, 0xb0, v12
	v_add_nc_u32_e32 v6, 0x160, v12
	;; [unrolled: 1-line block ×3, first 2 shown]
	v_add3_u32 v1, v1, v3, v2
	v_lshlrev_b64 v[2:3], 2, v[8:9]
	ds_read2_b32 v[8:9], v14 offset1:176
	v_mov_b32_e32 v5, v13
	v_lshlrev_b64 v[10:11], 2, v[12:13]
	v_lshlrev_b64 v[0:1], 2, v[0:1]
	v_mov_b32_e32 v7, v13
	v_lshlrev_b64 v[6:7], 2, v[6:7]
	v_add_co_u32 v16, vcc_lo, s10, v0
	v_add_co_ci_u32_e32 v17, vcc_lo, s11, v1, vcc_lo
	ds_read2_b32 v[0:1], v15 offset0:32 offset1:208
	v_add_co_u32 v16, vcc_lo, v16, v2
	v_add_co_ci_u32_e32 v17, vcc_lo, v17, v3, vcc_lo
	v_lshlrev_b64 v[2:3], 2, v[4:5]
	v_add_co_u32 v4, vcc_lo, v16, v10
	v_add_co_ci_u32_e32 v5, vcc_lo, v17, v11, vcc_lo
	v_add_nc_u32_e32 v10, 0x210, v12
	v_add_co_u32 v2, vcc_lo, v16, v2
	v_add_co_ci_u32_e32 v3, vcc_lo, v17, v3, vcc_lo
	v_add_co_u32 v6, vcc_lo, v16, v6
	v_add_co_ci_u32_e32 v7, vcc_lo, v17, v7, vcc_lo
	s_waitcnt lgkmcnt(1)
	global_store_dword v[4:5], v8, off
	global_store_dword v[2:3], v9, off
	s_waitcnt lgkmcnt(0)
	global_store_dword v[6:7], v0, off
	v_add_nc_u32_e32 v0, 0xa00, v14
	v_mov_b32_e32 v11, v13
	v_add_nc_u32_e32 v4, 0x2c0, v12
	v_mov_b32_e32 v5, v13
	v_add_nc_u32_e32 v6, 0x370, v12
	ds_read2_b32 v[8:9], v0 offset0:64 offset1:240
	v_add_nc_u32_e32 v0, 0x1000, v14
	v_lshlrev_b64 v[2:3], 2, v[10:11]
	v_mov_b32_e32 v7, v13
	v_lshlrev_b64 v[4:5], 2, v[4:5]
	v_add_nc_u32_e32 v10, 0x420, v12
	ds_read2_b32 v[14:15], v0 offset0:32 offset1:208
	v_add_nc_u32_e32 v12, 0x4d0, v12
	v_add_co_u32 v2, vcc_lo, v16, v2
	v_lshlrev_b64 v[6:7], 2, v[6:7]
	v_add_co_ci_u32_e32 v3, vcc_lo, v17, v3, vcc_lo
	v_add_co_u32 v4, vcc_lo, v16, v4
	v_lshlrev_b64 v[10:11], 2, v[10:11]
	v_add_co_ci_u32_e32 v5, vcc_lo, v17, v5, vcc_lo
	v_add_co_u32 v6, vcc_lo, v16, v6
	v_lshlrev_b64 v[12:13], 2, v[12:13]
	v_add_co_ci_u32_e32 v7, vcc_lo, v17, v7, vcc_lo
	v_add_co_u32 v10, vcc_lo, v16, v10
	v_add_co_ci_u32_e32 v11, vcc_lo, v17, v11, vcc_lo
	v_add_co_u32 v12, vcc_lo, v16, v12
	v_add_co_ci_u32_e32 v13, vcc_lo, v17, v13, vcc_lo
	global_store_dword v[2:3], v1, off
	s_waitcnt lgkmcnt(1)
	global_store_dword v[4:5], v8, off
	global_store_dword v[6:7], v9, off
	s_waitcnt lgkmcnt(0)
	global_store_dword v[10:11], v14, off
	global_store_dword v[12:13], v15, off
.LBB0_25:
	s_endpgm
	.section	.rodata,"a",@progbits
	.p2align	6, 0x0
	.amdhsa_kernel fft_rtc_back_len1408_factors_2_2_2_2_2_2_11_2_wgs_176_tpt_176_halfLds_half_op_CI_CI_unitstride_sbrr_C2R_dirReg
		.amdhsa_group_segment_fixed_size 0
		.amdhsa_private_segment_fixed_size 0
		.amdhsa_kernarg_size 104
		.amdhsa_user_sgpr_count 6
		.amdhsa_user_sgpr_private_segment_buffer 1
		.amdhsa_user_sgpr_dispatch_ptr 0
		.amdhsa_user_sgpr_queue_ptr 0
		.amdhsa_user_sgpr_kernarg_segment_ptr 1
		.amdhsa_user_sgpr_dispatch_id 0
		.amdhsa_user_sgpr_flat_scratch_init 0
		.amdhsa_user_sgpr_private_segment_size 0
		.amdhsa_wavefront_size32 1
		.amdhsa_uses_dynamic_stack 0
		.amdhsa_system_sgpr_private_segment_wavefront_offset 0
		.amdhsa_system_sgpr_workgroup_id_x 1
		.amdhsa_system_sgpr_workgroup_id_y 0
		.amdhsa_system_sgpr_workgroup_id_z 0
		.amdhsa_system_sgpr_workgroup_info 0
		.amdhsa_system_vgpr_workitem_id 0
		.amdhsa_next_free_vgpr 130
		.amdhsa_next_free_sgpr 27
		.amdhsa_reserve_vcc 1
		.amdhsa_reserve_flat_scratch 0
		.amdhsa_float_round_mode_32 0
		.amdhsa_float_round_mode_16_64 0
		.amdhsa_float_denorm_mode_32 3
		.amdhsa_float_denorm_mode_16_64 3
		.amdhsa_dx10_clamp 1
		.amdhsa_ieee_mode 1
		.amdhsa_fp16_overflow 0
		.amdhsa_workgroup_processor_mode 1
		.amdhsa_memory_ordered 1
		.amdhsa_forward_progress 0
		.amdhsa_shared_vgpr_count 0
		.amdhsa_exception_fp_ieee_invalid_op 0
		.amdhsa_exception_fp_denorm_src 0
		.amdhsa_exception_fp_ieee_div_zero 0
		.amdhsa_exception_fp_ieee_overflow 0
		.amdhsa_exception_fp_ieee_underflow 0
		.amdhsa_exception_fp_ieee_inexact 0
		.amdhsa_exception_int_div_zero 0
	.end_amdhsa_kernel
	.text
.Lfunc_end0:
	.size	fft_rtc_back_len1408_factors_2_2_2_2_2_2_11_2_wgs_176_tpt_176_halfLds_half_op_CI_CI_unitstride_sbrr_C2R_dirReg, .Lfunc_end0-fft_rtc_back_len1408_factors_2_2_2_2_2_2_11_2_wgs_176_tpt_176_halfLds_half_op_CI_CI_unitstride_sbrr_C2R_dirReg
                                        ; -- End function
	.section	.AMDGPU.csdata,"",@progbits
; Kernel info:
; codeLenInByte = 8252
; NumSgprs: 29
; NumVgprs: 130
; ScratchSize: 0
; MemoryBound: 0
; FloatMode: 240
; IeeeMode: 1
; LDSByteSize: 0 bytes/workgroup (compile time only)
; SGPRBlocks: 3
; VGPRBlocks: 16
; NumSGPRsForWavesPerEU: 29
; NumVGPRsForWavesPerEU: 130
; Occupancy: 7
; WaveLimiterHint : 1
; COMPUTE_PGM_RSRC2:SCRATCH_EN: 0
; COMPUTE_PGM_RSRC2:USER_SGPR: 6
; COMPUTE_PGM_RSRC2:TRAP_HANDLER: 0
; COMPUTE_PGM_RSRC2:TGID_X_EN: 1
; COMPUTE_PGM_RSRC2:TGID_Y_EN: 0
; COMPUTE_PGM_RSRC2:TGID_Z_EN: 0
; COMPUTE_PGM_RSRC2:TIDIG_COMP_CNT: 0
	.text
	.p2alignl 6, 3214868480
	.fill 48, 4, 3214868480
	.type	__hip_cuid_22e568c954dc094c,@object ; @__hip_cuid_22e568c954dc094c
	.section	.bss,"aw",@nobits
	.globl	__hip_cuid_22e568c954dc094c
__hip_cuid_22e568c954dc094c:
	.byte	0                               ; 0x0
	.size	__hip_cuid_22e568c954dc094c, 1

	.ident	"AMD clang version 19.0.0git (https://github.com/RadeonOpenCompute/llvm-project roc-6.4.0 25133 c7fe45cf4b819c5991fe208aaa96edf142730f1d)"
	.section	".note.GNU-stack","",@progbits
	.addrsig
	.addrsig_sym __hip_cuid_22e568c954dc094c
	.amdgpu_metadata
---
amdhsa.kernels:
  - .args:
      - .actual_access:  read_only
        .address_space:  global
        .offset:         0
        .size:           8
        .value_kind:     global_buffer
      - .offset:         8
        .size:           8
        .value_kind:     by_value
      - .actual_access:  read_only
        .address_space:  global
        .offset:         16
        .size:           8
        .value_kind:     global_buffer
      - .actual_access:  read_only
        .address_space:  global
        .offset:         24
        .size:           8
        .value_kind:     global_buffer
      - .actual_access:  read_only
        .address_space:  global
        .offset:         32
        .size:           8
        .value_kind:     global_buffer
      - .offset:         40
        .size:           8
        .value_kind:     by_value
      - .actual_access:  read_only
        .address_space:  global
        .offset:         48
        .size:           8
        .value_kind:     global_buffer
      - .actual_access:  read_only
        .address_space:  global
        .offset:         56
        .size:           8
        .value_kind:     global_buffer
      - .offset:         64
        .size:           4
        .value_kind:     by_value
      - .actual_access:  read_only
        .address_space:  global
        .offset:         72
        .size:           8
        .value_kind:     global_buffer
      - .actual_access:  read_only
        .address_space:  global
        .offset:         80
        .size:           8
        .value_kind:     global_buffer
      - .actual_access:  read_only
        .address_space:  global
        .offset:         88
        .size:           8
        .value_kind:     global_buffer
      - .actual_access:  write_only
        .address_space:  global
        .offset:         96
        .size:           8
        .value_kind:     global_buffer
    .group_segment_fixed_size: 0
    .kernarg_segment_align: 8
    .kernarg_segment_size: 104
    .language:       OpenCL C
    .language_version:
      - 2
      - 0
    .max_flat_workgroup_size: 176
    .name:           fft_rtc_back_len1408_factors_2_2_2_2_2_2_11_2_wgs_176_tpt_176_halfLds_half_op_CI_CI_unitstride_sbrr_C2R_dirReg
    .private_segment_fixed_size: 0
    .sgpr_count:     29
    .sgpr_spill_count: 0
    .symbol:         fft_rtc_back_len1408_factors_2_2_2_2_2_2_11_2_wgs_176_tpt_176_halfLds_half_op_CI_CI_unitstride_sbrr_C2R_dirReg.kd
    .uniform_work_group_size: 1
    .uses_dynamic_stack: false
    .vgpr_count:     130
    .vgpr_spill_count: 0
    .wavefront_size: 32
    .workgroup_processor_mode: 1
amdhsa.target:   amdgcn-amd-amdhsa--gfx1030
amdhsa.version:
  - 1
  - 2
...

	.end_amdgpu_metadata
